;; amdgpu-corpus repo=LLNL/RAJAPerf kind=compiled arch=gfx1250 opt=O3
	.amdgcn_target "amdgcn-amd-amdhsa--gfx1250"
	.amdhsa_code_object_version 6
	.section	.text._ZN4RAJA28launch_new_reduce_global_fcnIZ4mainEUlNS_14LaunchContextTINS_3hip33LaunchContextIndicesAndDimsPolicyINS2_14IndicesAndDimsILb0ELb0ELb0ELb0EEEEEEEE0_NS_4expt15ForallParamPackIJEEEEEvT_T0_,"axG",@progbits,_ZN4RAJA28launch_new_reduce_global_fcnIZ4mainEUlNS_14LaunchContextTINS_3hip33LaunchContextIndicesAndDimsPolicyINS2_14IndicesAndDimsILb0ELb0ELb0ELb0EEEEEEEE0_NS_4expt15ForallParamPackIJEEEEEvT_T0_,comdat
	.globl	_ZN4RAJA28launch_new_reduce_global_fcnIZ4mainEUlNS_14LaunchContextTINS_3hip33LaunchContextIndicesAndDimsPolicyINS2_14IndicesAndDimsILb0ELb0ELb0ELb0EEEEEEEE0_NS_4expt15ForallParamPackIJEEEEEvT_T0_ ; -- Begin function _ZN4RAJA28launch_new_reduce_global_fcnIZ4mainEUlNS_14LaunchContextTINS_3hip33LaunchContextIndicesAndDimsPolicyINS2_14IndicesAndDimsILb0ELb0ELb0ELb0EEEEEEEE0_NS_4expt15ForallParamPackIJEEEEEvT_T0_
	.p2align	8
	.type	_ZN4RAJA28launch_new_reduce_global_fcnIZ4mainEUlNS_14LaunchContextTINS_3hip33LaunchContextIndicesAndDimsPolicyINS2_14IndicesAndDimsILb0ELb0ELb0ELb0EEEEEEEE0_NS_4expt15ForallParamPackIJEEEEEvT_T0_,@function
_ZN4RAJA28launch_new_reduce_global_fcnIZ4mainEUlNS_14LaunchContextTINS_3hip33LaunchContextIndicesAndDimsPolicyINS2_14IndicesAndDimsILb0ELb0ELb0ELb0EEEEEEEE0_NS_4expt15ForallParamPackIJEEEEEvT_T0_: ; @_ZN4RAJA28launch_new_reduce_global_fcnIZ4mainEUlNS_14LaunchContextTINS_3hip33LaunchContextIndicesAndDimsPolicyINS2_14IndicesAndDimsILb0ELb0ELb0ELb0EEEEEEEE0_NS_4expt15ForallParamPackIJEEEEEvT_T0_
; %bb.0:
	s_bfe_u32 s2, ttmp6, 0x40014
	s_lshr_b32 s4, ttmp7, 16
	s_add_co_i32 s2, s2, 1
	s_bfe_u32 s5, ttmp6, 0x40008
	s_mul_i32 s2, s4, s2
	s_getreg_b32 s3, hwreg(HW_REG_IB_STS2, 6, 4)
	s_add_co_i32 s5, s5, s2
	s_cmp_eq_u32 s3, 0
	s_cselect_b32 s2, s4, s5
	s_delay_alu instid0(SALU_CYCLE_1)
	s_cmp_gt_i32 s2, 0x63
	s_cbranch_scc1 .LBB0_4
; %bb.1:
	s_load_u16 s4, s[0:1], 0x4e
	s_bfe_u32 s5, ttmp6, 0x40010
	s_and_b32 s6, ttmp7, 0xffff
	s_add_co_i32 s5, s5, 1
	s_bfe_u32 s7, ttmp6, 0x40004
	s_mul_i32 s5, s6, s5
	v_bfe_u32 v1, v0, 10, 10
	s_add_co_i32 s7, s7, s5
	s_cmp_eq_u32 s3, 0
	s_cselect_b32 s5, s6, s7
	s_wait_kmcnt 0x0
	v_mad_u32 v1, s5, s4, v1
	s_mov_b32 s4, exec_lo
	s_delay_alu instid0(VALU_DEP_1)
	v_cmpx_gt_i32_e32 0x64, v1
	s_cbranch_execz .LBB0_4
; %bb.2:
	s_add_nc_u64 s[4:5], s[0:1], 64
	s_and_b32 s6, ttmp6, 15
	s_load_b32 s4, s[4:5], 0xc
	s_wait_xcnt 0x0
	s_bfe_u32 s5, ttmp6, 0x4000c
	v_and_b32_e32 v0, 0x3ff, v0
	s_add_co_i32 s5, s5, 1
	s_delay_alu instid0(SALU_CYCLE_1) | instskip(NEXT) | instid1(SALU_CYCLE_1)
	s_mul_i32 s5, ttmp9, s5
	s_add_co_i32 s6, s6, s5
	s_wait_kmcnt 0x0
	s_and_b32 s4, s4, 0xffff
	s_cmp_eq_u32 s3, 0
	s_cselect_b32 s3, ttmp9, s6
	s_delay_alu instid0(SALU_CYCLE_1) | instskip(NEXT) | instid1(VALU_DEP_1)
	v_mad_u32 v0, s3, s4, v0
	v_cmp_gt_i32_e32 vcc_lo, 0x64, v0
	s_and_b32 exec_lo, exec_lo, vcc_lo
	s_cbranch_execz .LBB0_4
; %bb.3:
	v_cvt_f64_i32_e32 v[2:3], v0
	v_cvt_f64_i32_e32 v[4:5], v1
	s_load_b96 s[4:6], s[0:1], 0x14
	s_delay_alu instid0(VALU_DEP_2) | instskip(SKIP_2) | instid1(VALU_DEP_1)
	v_mul_f64_e32 v[2:3], 0x3f1a36e2eb1c432d, v[2:3]
	s_wait_xcnt 0x0
	s_load_b64 s[0:1], s[0:1], 0x0
	v_mul_f64_e32 v[2:3], v[2:3], v[4:5]
	v_cvt_f64_i32_e32 v[4:5], s2
	s_wait_kmcnt 0x0
	s_mul_i32 s2, s6, s2
	s_delay_alu instid0(SALU_CYCLE_1) | instskip(NEXT) | instid1(VALU_DEP_1)
	v_mad_u32 v1, v1, s5, s2
	v_mad_u32 v0, v0, s4, v1
	s_delay_alu instid0(VALU_DEP_3)
	v_mul_f64_e32 v[2:3], v[2:3], v[4:5]
	global_store_b64 v0, v[2:3], s[0:1] scale_offset
.LBB0_4:
	s_endpgm
	.section	.rodata,"a",@progbits
	.p2align	6, 0x0
	.amdhsa_kernel _ZN4RAJA28launch_new_reduce_global_fcnIZ4mainEUlNS_14LaunchContextTINS_3hip33LaunchContextIndicesAndDimsPolicyINS2_14IndicesAndDimsILb0ELb0ELb0ELb0EEEEEEEE0_NS_4expt15ForallParamPackIJEEEEEvT_T0_
		.amdhsa_group_segment_fixed_size 0
		.amdhsa_private_segment_fixed_size 0
		.amdhsa_kernarg_size 320
		.amdhsa_user_sgpr_count 2
		.amdhsa_user_sgpr_dispatch_ptr 0
		.amdhsa_user_sgpr_queue_ptr 0
		.amdhsa_user_sgpr_kernarg_segment_ptr 1
		.amdhsa_user_sgpr_dispatch_id 0
		.amdhsa_user_sgpr_kernarg_preload_length 0
		.amdhsa_user_sgpr_kernarg_preload_offset 0
		.amdhsa_user_sgpr_private_segment_size 0
		.amdhsa_wavefront_size32 1
		.amdhsa_uses_dynamic_stack 0
		.amdhsa_enable_private_segment 0
		.amdhsa_system_sgpr_workgroup_id_x 1
		.amdhsa_system_sgpr_workgroup_id_y 1
		.amdhsa_system_sgpr_workgroup_id_z 1
		.amdhsa_system_sgpr_workgroup_info 0
		.amdhsa_system_vgpr_workitem_id 1
		.amdhsa_next_free_vgpr 6
		.amdhsa_next_free_sgpr 8
		.amdhsa_named_barrier_count 0
		.amdhsa_reserve_vcc 1
		.amdhsa_float_round_mode_32 0
		.amdhsa_float_round_mode_16_64 0
		.amdhsa_float_denorm_mode_32 3
		.amdhsa_float_denorm_mode_16_64 3
		.amdhsa_fp16_overflow 0
		.amdhsa_memory_ordered 1
		.amdhsa_forward_progress 1
		.amdhsa_inst_pref_size 3
		.amdhsa_round_robin_scheduling 0
		.amdhsa_exception_fp_ieee_invalid_op 0
		.amdhsa_exception_fp_denorm_src 0
		.amdhsa_exception_fp_ieee_div_zero 0
		.amdhsa_exception_fp_ieee_overflow 0
		.amdhsa_exception_fp_ieee_underflow 0
		.amdhsa_exception_fp_ieee_inexact 0
		.amdhsa_exception_int_div_zero 0
	.end_amdhsa_kernel
	.section	.text._ZN4RAJA28launch_new_reduce_global_fcnIZ4mainEUlNS_14LaunchContextTINS_3hip33LaunchContextIndicesAndDimsPolicyINS2_14IndicesAndDimsILb0ELb0ELb0ELb0EEEEEEEE0_NS_4expt15ForallParamPackIJEEEEEvT_T0_,"axG",@progbits,_ZN4RAJA28launch_new_reduce_global_fcnIZ4mainEUlNS_14LaunchContextTINS_3hip33LaunchContextIndicesAndDimsPolicyINS2_14IndicesAndDimsILb0ELb0ELb0ELb0EEEEEEEE0_NS_4expt15ForallParamPackIJEEEEEvT_T0_,comdat
.Lfunc_end0:
	.size	_ZN4RAJA28launch_new_reduce_global_fcnIZ4mainEUlNS_14LaunchContextTINS_3hip33LaunchContextIndicesAndDimsPolicyINS2_14IndicesAndDimsILb0ELb0ELb0ELb0EEEEEEEE0_NS_4expt15ForallParamPackIJEEEEEvT_T0_, .Lfunc_end0-_ZN4RAJA28launch_new_reduce_global_fcnIZ4mainEUlNS_14LaunchContextTINS_3hip33LaunchContextIndicesAndDimsPolicyINS2_14IndicesAndDimsILb0ELb0ELb0ELb0EEEEEEEE0_NS_4expt15ForallParamPackIJEEEEEvT_T0_
                                        ; -- End function
	.set _ZN4RAJA28launch_new_reduce_global_fcnIZ4mainEUlNS_14LaunchContextTINS_3hip33LaunchContextIndicesAndDimsPolicyINS2_14IndicesAndDimsILb0ELb0ELb0ELb0EEEEEEEE0_NS_4expt15ForallParamPackIJEEEEEvT_T0_.num_vgpr, 6
	.set _ZN4RAJA28launch_new_reduce_global_fcnIZ4mainEUlNS_14LaunchContextTINS_3hip33LaunchContextIndicesAndDimsPolicyINS2_14IndicesAndDimsILb0ELb0ELb0ELb0EEEEEEEE0_NS_4expt15ForallParamPackIJEEEEEvT_T0_.num_agpr, 0
	.set _ZN4RAJA28launch_new_reduce_global_fcnIZ4mainEUlNS_14LaunchContextTINS_3hip33LaunchContextIndicesAndDimsPolicyINS2_14IndicesAndDimsILb0ELb0ELb0ELb0EEEEEEEE0_NS_4expt15ForallParamPackIJEEEEEvT_T0_.numbered_sgpr, 8
	.set _ZN4RAJA28launch_new_reduce_global_fcnIZ4mainEUlNS_14LaunchContextTINS_3hip33LaunchContextIndicesAndDimsPolicyINS2_14IndicesAndDimsILb0ELb0ELb0ELb0EEEEEEEE0_NS_4expt15ForallParamPackIJEEEEEvT_T0_.num_named_barrier, 0
	.set _ZN4RAJA28launch_new_reduce_global_fcnIZ4mainEUlNS_14LaunchContextTINS_3hip33LaunchContextIndicesAndDimsPolicyINS2_14IndicesAndDimsILb0ELb0ELb0ELb0EEEEEEEE0_NS_4expt15ForallParamPackIJEEEEEvT_T0_.private_seg_size, 0
	.set _ZN4RAJA28launch_new_reduce_global_fcnIZ4mainEUlNS_14LaunchContextTINS_3hip33LaunchContextIndicesAndDimsPolicyINS2_14IndicesAndDimsILb0ELb0ELb0ELb0EEEEEEEE0_NS_4expt15ForallParamPackIJEEEEEvT_T0_.uses_vcc, 1
	.set _ZN4RAJA28launch_new_reduce_global_fcnIZ4mainEUlNS_14LaunchContextTINS_3hip33LaunchContextIndicesAndDimsPolicyINS2_14IndicesAndDimsILb0ELb0ELb0ELb0EEEEEEEE0_NS_4expt15ForallParamPackIJEEEEEvT_T0_.uses_flat_scratch, 0
	.set _ZN4RAJA28launch_new_reduce_global_fcnIZ4mainEUlNS_14LaunchContextTINS_3hip33LaunchContextIndicesAndDimsPolicyINS2_14IndicesAndDimsILb0ELb0ELb0ELb0EEEEEEEE0_NS_4expt15ForallParamPackIJEEEEEvT_T0_.has_dyn_sized_stack, 0
	.set _ZN4RAJA28launch_new_reduce_global_fcnIZ4mainEUlNS_14LaunchContextTINS_3hip33LaunchContextIndicesAndDimsPolicyINS2_14IndicesAndDimsILb0ELb0ELb0ELb0EEEEEEEE0_NS_4expt15ForallParamPackIJEEEEEvT_T0_.has_recursion, 0
	.set _ZN4RAJA28launch_new_reduce_global_fcnIZ4mainEUlNS_14LaunchContextTINS_3hip33LaunchContextIndicesAndDimsPolicyINS2_14IndicesAndDimsILb0ELb0ELb0ELb0EEEEEEEE0_NS_4expt15ForallParamPackIJEEEEEvT_T0_.has_indirect_call, 0
	.section	.AMDGPU.csdata,"",@progbits
; Kernel info:
; codeLenInByte = 356
; TotalNumSgprs: 10
; NumVgprs: 6
; ScratchSize: 0
; MemoryBound: 0
; FloatMode: 240
; IeeeMode: 1
; LDSByteSize: 0 bytes/workgroup (compile time only)
; SGPRBlocks: 0
; VGPRBlocks: 0
; NumSGPRsForWavesPerEU: 10
; NumVGPRsForWavesPerEU: 6
; NamedBarCnt: 0
; Occupancy: 16
; WaveLimiterHint : 0
; COMPUTE_PGM_RSRC2:SCRATCH_EN: 0
; COMPUTE_PGM_RSRC2:USER_SGPR: 2
; COMPUTE_PGM_RSRC2:TRAP_HANDLER: 0
; COMPUTE_PGM_RSRC2:TGID_X_EN: 1
; COMPUTE_PGM_RSRC2:TGID_Y_EN: 1
; COMPUTE_PGM_RSRC2:TGID_Z_EN: 1
; COMPUTE_PGM_RSRC2:TIDIG_COMP_CNT: 1
	.section	.text._ZN4RAJA28launch_new_reduce_global_fcnIZ4mainEUlNS_14LaunchContextTINS_3hip33LaunchContextIndicesAndDimsPolicyINS2_14IndicesAndDimsILb0ELb0ELb0ELb0EEEEEEEE1_NS_4expt15ForallParamPackIJEEEEEvT_T0_,"axG",@progbits,_ZN4RAJA28launch_new_reduce_global_fcnIZ4mainEUlNS_14LaunchContextTINS_3hip33LaunchContextIndicesAndDimsPolicyINS2_14IndicesAndDimsILb0ELb0ELb0ELb0EEEEEEEE1_NS_4expt15ForallParamPackIJEEEEEvT_T0_,comdat
	.globl	_ZN4RAJA28launch_new_reduce_global_fcnIZ4mainEUlNS_14LaunchContextTINS_3hip33LaunchContextIndicesAndDimsPolicyINS2_14IndicesAndDimsILb0ELb0ELb0ELb0EEEEEEEE1_NS_4expt15ForallParamPackIJEEEEEvT_T0_ ; -- Begin function _ZN4RAJA28launch_new_reduce_global_fcnIZ4mainEUlNS_14LaunchContextTINS_3hip33LaunchContextIndicesAndDimsPolicyINS2_14IndicesAndDimsILb0ELb0ELb0ELb0EEEEEEEE1_NS_4expt15ForallParamPackIJEEEEEvT_T0_
	.p2align	8
	.type	_ZN4RAJA28launch_new_reduce_global_fcnIZ4mainEUlNS_14LaunchContextTINS_3hip33LaunchContextIndicesAndDimsPolicyINS2_14IndicesAndDimsILb0ELb0ELb0ELb0EEEEEEEE1_NS_4expt15ForallParamPackIJEEEEEvT_T0_,@function
_ZN4RAJA28launch_new_reduce_global_fcnIZ4mainEUlNS_14LaunchContextTINS_3hip33LaunchContextIndicesAndDimsPolicyINS2_14IndicesAndDimsILb0ELb0ELb0ELb0EEEEEEEE1_NS_4expt15ForallParamPackIJEEEEEvT_T0_: ; @_ZN4RAJA28launch_new_reduce_global_fcnIZ4mainEUlNS_14LaunchContextTINS_3hip33LaunchContextIndicesAndDimsPolicyINS2_14IndicesAndDimsILb0ELb0ELb0ELb0EEEEEEEE1_NS_4expt15ForallParamPackIJEEEEEvT_T0_
; %bb.0:
	s_bfe_u32 s2, ttmp6, 0x40010
	s_and_b32 s3, ttmp7, 0xffff
	s_add_co_i32 s2, s2, 1
	s_bfe_u32 s4, ttmp6, 0x40004
	s_mul_i32 s2, s3, s2
	s_getreg_b32 s5, hwreg(HW_REG_IB_STS2, 6, 4)
	s_add_co_i32 s4, s4, s2
	s_cmp_eq_u32 s5, 0
	v_bfe_u32 v1, v0, 10, 10
	s_cselect_b32 s2, s3, s4
	s_bfe_u32 s3, ttmp6, 0x4000c
	s_and_b32 s4, ttmp6, 15
	s_add_co_i32 s3, s3, 1
	v_and_b32_e32 v0, 0x3ff, v0
	s_mul_i32 s3, ttmp9, s3
	s_delay_alu instid0(SALU_CYCLE_1)
	s_add_co_i32 s4, s4, s3
	s_cmp_eq_u32 s5, 0
	s_cselect_b32 s6, ttmp9, s4
	s_bfe_u32 s3, ttmp6, 0x40014
	s_lshr_b32 s4, ttmp7, 16
	s_add_co_i32 s3, s3, 1
	s_bfe_u32 s7, ttmp6, 0x40008
	s_mul_i32 s3, s4, s3
	s_delay_alu instid0(SALU_CYCLE_1) | instskip(SKIP_2) | instid1(SALU_CYCLE_1)
	s_add_co_i32 s7, s7, s3
	s_cmp_eq_u32 s5, 0
	s_cselect_b32 s3, s4, s7
	s_cmp_lt_i32 s3, 0x64
	s_cselect_b32 s7, -1, 0
	s_lshl_b32 s4, s2, 3
	s_cmp_lt_i32 s2, 13
	s_cselect_b32 s2, -1, 0
	s_lshl_b32 s5, s6, 5
	s_and_b32 s7, s7, s2
	s_cmp_lt_i32 s6, 4
	s_cselect_b32 s6, -1, 0
	s_min_i32 s2, s4, 0x5c
	s_min_i32 s8, s5, 0x44
	s_add_co_i32 s2, s2, 8
	s_add_co_i32 s8, s8, 32
	s_max_i32 s2, s4, s2
	s_max_i32 s8, s5, s8
	s_sub_co_i32 s2, s2, s4
	s_and_b32 s6, s7, s6
	v_cmp_gt_i32_e32 vcc_lo, s2, v1
	s_sub_co_i32 s2, s8, s5
	s_delay_alu instid0(SALU_CYCLE_1) | instskip(SKIP_1) | instid1(SALU_CYCLE_1)
	v_cmp_gt_i32_e64 s2, s2, v0
	s_and_b32 s6, s6, vcc_lo
	s_and_b32 s2, s6, s2
	s_delay_alu instid0(SALU_CYCLE_1)
	s_and_saveexec_b32 s6, s2
	s_cbranch_execz .LBB1_2
; %bb.1:
	v_dual_add_nc_u32 v4, s5, v0 :: v_dual_add_nc_u32 v5, s4, v1
	s_load_b96 s[4:6], s[0:1], 0x14
	s_delay_alu instid0(VALU_DEP_1) | instskip(NEXT) | instid1(VALU_DEP_2)
	v_cvt_f64_i32_e32 v[2:3], v4
	v_cvt_f64_i32_e32 v[0:1], v5
	s_wait_xcnt 0x0
	s_load_b64 s[0:1], s[0:1], 0x0
	s_wait_kmcnt 0x0
	v_mul_lo_u32 v4, s4, v4
	s_delay_alu instid0(VALU_DEP_3) | instskip(NEXT) | instid1(VALU_DEP_1)
	v_mul_f64_e32 v[2:3], 0x3f1a36e2eb1c432d, v[2:3]
	v_mul_f64_e32 v[0:1], v[2:3], v[0:1]
	v_cvt_f64_i32_e32 v[2:3], s3
	s_delay_alu instid0(VALU_DEP_1) | instskip(SKIP_1) | instid1(VALU_DEP_1)
	v_mul_f64_e32 v[0:1], v[0:1], v[2:3]
	v_mad_u32 v2, s5, v5, v4
	v_mad_u32 v2, s6, s3, v2
	global_store_b64 v2, v[0:1], s[0:1] scale_offset
.LBB1_2:
	s_endpgm
	.section	.rodata,"a",@progbits
	.p2align	6, 0x0
	.amdhsa_kernel _ZN4RAJA28launch_new_reduce_global_fcnIZ4mainEUlNS_14LaunchContextTINS_3hip33LaunchContextIndicesAndDimsPolicyINS2_14IndicesAndDimsILb0ELb0ELb0ELb0EEEEEEEE1_NS_4expt15ForallParamPackIJEEEEEvT_T0_
		.amdhsa_group_segment_fixed_size 0
		.amdhsa_private_segment_fixed_size 0
		.amdhsa_kernarg_size 60
		.amdhsa_user_sgpr_count 2
		.amdhsa_user_sgpr_dispatch_ptr 0
		.amdhsa_user_sgpr_queue_ptr 0
		.amdhsa_user_sgpr_kernarg_segment_ptr 1
		.amdhsa_user_sgpr_dispatch_id 0
		.amdhsa_user_sgpr_kernarg_preload_length 0
		.amdhsa_user_sgpr_kernarg_preload_offset 0
		.amdhsa_user_sgpr_private_segment_size 0
		.amdhsa_wavefront_size32 1
		.amdhsa_uses_dynamic_stack 0
		.amdhsa_enable_private_segment 0
		.amdhsa_system_sgpr_workgroup_id_x 1
		.amdhsa_system_sgpr_workgroup_id_y 1
		.amdhsa_system_sgpr_workgroup_id_z 1
		.amdhsa_system_sgpr_workgroup_info 0
		.amdhsa_system_vgpr_workitem_id 1
		.amdhsa_next_free_vgpr 6
		.amdhsa_next_free_sgpr 9
		.amdhsa_named_barrier_count 0
		.amdhsa_reserve_vcc 1
		.amdhsa_float_round_mode_32 0
		.amdhsa_float_round_mode_16_64 0
		.amdhsa_float_denorm_mode_32 3
		.amdhsa_float_denorm_mode_16_64 3
		.amdhsa_fp16_overflow 0
		.amdhsa_memory_ordered 1
		.amdhsa_forward_progress 1
		.amdhsa_inst_pref_size 3
		.amdhsa_round_robin_scheduling 0
		.amdhsa_exception_fp_ieee_invalid_op 0
		.amdhsa_exception_fp_denorm_src 0
		.amdhsa_exception_fp_ieee_div_zero 0
		.amdhsa_exception_fp_ieee_overflow 0
		.amdhsa_exception_fp_ieee_underflow 0
		.amdhsa_exception_fp_ieee_inexact 0
		.amdhsa_exception_int_div_zero 0
	.end_amdhsa_kernel
	.section	.text._ZN4RAJA28launch_new_reduce_global_fcnIZ4mainEUlNS_14LaunchContextTINS_3hip33LaunchContextIndicesAndDimsPolicyINS2_14IndicesAndDimsILb0ELb0ELb0ELb0EEEEEEEE1_NS_4expt15ForallParamPackIJEEEEEvT_T0_,"axG",@progbits,_ZN4RAJA28launch_new_reduce_global_fcnIZ4mainEUlNS_14LaunchContextTINS_3hip33LaunchContextIndicesAndDimsPolicyINS2_14IndicesAndDimsILb0ELb0ELb0ELb0EEEEEEEE1_NS_4expt15ForallParamPackIJEEEEEvT_T0_,comdat
.Lfunc_end1:
	.size	_ZN4RAJA28launch_new_reduce_global_fcnIZ4mainEUlNS_14LaunchContextTINS_3hip33LaunchContextIndicesAndDimsPolicyINS2_14IndicesAndDimsILb0ELb0ELb0ELb0EEEEEEEE1_NS_4expt15ForallParamPackIJEEEEEvT_T0_, .Lfunc_end1-_ZN4RAJA28launch_new_reduce_global_fcnIZ4mainEUlNS_14LaunchContextTINS_3hip33LaunchContextIndicesAndDimsPolicyINS2_14IndicesAndDimsILb0ELb0ELb0ELb0EEEEEEEE1_NS_4expt15ForallParamPackIJEEEEEvT_T0_
                                        ; -- End function
	.set _ZN4RAJA28launch_new_reduce_global_fcnIZ4mainEUlNS_14LaunchContextTINS_3hip33LaunchContextIndicesAndDimsPolicyINS2_14IndicesAndDimsILb0ELb0ELb0ELb0EEEEEEEE1_NS_4expt15ForallParamPackIJEEEEEvT_T0_.num_vgpr, 6
	.set _ZN4RAJA28launch_new_reduce_global_fcnIZ4mainEUlNS_14LaunchContextTINS_3hip33LaunchContextIndicesAndDimsPolicyINS2_14IndicesAndDimsILb0ELb0ELb0ELb0EEEEEEEE1_NS_4expt15ForallParamPackIJEEEEEvT_T0_.num_agpr, 0
	.set _ZN4RAJA28launch_new_reduce_global_fcnIZ4mainEUlNS_14LaunchContextTINS_3hip33LaunchContextIndicesAndDimsPolicyINS2_14IndicesAndDimsILb0ELb0ELb0ELb0EEEEEEEE1_NS_4expt15ForallParamPackIJEEEEEvT_T0_.numbered_sgpr, 9
	.set _ZN4RAJA28launch_new_reduce_global_fcnIZ4mainEUlNS_14LaunchContextTINS_3hip33LaunchContextIndicesAndDimsPolicyINS2_14IndicesAndDimsILb0ELb0ELb0ELb0EEEEEEEE1_NS_4expt15ForallParamPackIJEEEEEvT_T0_.num_named_barrier, 0
	.set _ZN4RAJA28launch_new_reduce_global_fcnIZ4mainEUlNS_14LaunchContextTINS_3hip33LaunchContextIndicesAndDimsPolicyINS2_14IndicesAndDimsILb0ELb0ELb0ELb0EEEEEEEE1_NS_4expt15ForallParamPackIJEEEEEvT_T0_.private_seg_size, 0
	.set _ZN4RAJA28launch_new_reduce_global_fcnIZ4mainEUlNS_14LaunchContextTINS_3hip33LaunchContextIndicesAndDimsPolicyINS2_14IndicesAndDimsILb0ELb0ELb0ELb0EEEEEEEE1_NS_4expt15ForallParamPackIJEEEEEvT_T0_.uses_vcc, 1
	.set _ZN4RAJA28launch_new_reduce_global_fcnIZ4mainEUlNS_14LaunchContextTINS_3hip33LaunchContextIndicesAndDimsPolicyINS2_14IndicesAndDimsILb0ELb0ELb0ELb0EEEEEEEE1_NS_4expt15ForallParamPackIJEEEEEvT_T0_.uses_flat_scratch, 0
	.set _ZN4RAJA28launch_new_reduce_global_fcnIZ4mainEUlNS_14LaunchContextTINS_3hip33LaunchContextIndicesAndDimsPolicyINS2_14IndicesAndDimsILb0ELb0ELb0ELb0EEEEEEEE1_NS_4expt15ForallParamPackIJEEEEEvT_T0_.has_dyn_sized_stack, 0
	.set _ZN4RAJA28launch_new_reduce_global_fcnIZ4mainEUlNS_14LaunchContextTINS_3hip33LaunchContextIndicesAndDimsPolicyINS2_14IndicesAndDimsILb0ELb0ELb0ELb0EEEEEEEE1_NS_4expt15ForallParamPackIJEEEEEvT_T0_.has_recursion, 0
	.set _ZN4RAJA28launch_new_reduce_global_fcnIZ4mainEUlNS_14LaunchContextTINS_3hip33LaunchContextIndicesAndDimsPolicyINS2_14IndicesAndDimsILb0ELb0ELb0ELb0EEEEEEEE1_NS_4expt15ForallParamPackIJEEEEEvT_T0_.has_indirect_call, 0
	.section	.AMDGPU.csdata,"",@progbits
; Kernel info:
; codeLenInByte = 384
; TotalNumSgprs: 11
; NumVgprs: 6
; ScratchSize: 0
; MemoryBound: 0
; FloatMode: 240
; IeeeMode: 1
; LDSByteSize: 0 bytes/workgroup (compile time only)
; SGPRBlocks: 0
; VGPRBlocks: 0
; NumSGPRsForWavesPerEU: 11
; NumVGPRsForWavesPerEU: 6
; NamedBarCnt: 0
; Occupancy: 16
; WaveLimiterHint : 0
; COMPUTE_PGM_RSRC2:SCRATCH_EN: 0
; COMPUTE_PGM_RSRC2:USER_SGPR: 2
; COMPUTE_PGM_RSRC2:TRAP_HANDLER: 0
; COMPUTE_PGM_RSRC2:TGID_X_EN: 1
; COMPUTE_PGM_RSRC2:TGID_Y_EN: 1
; COMPUTE_PGM_RSRC2:TGID_Z_EN: 1
; COMPUTE_PGM_RSRC2:TIDIG_COMP_CNT: 1
	.section	.AMDGPU.gpr_maximums,"",@progbits
	.set amdgpu.max_num_vgpr, 0
	.set amdgpu.max_num_agpr, 0
	.set amdgpu.max_num_sgpr, 0
	.section	.AMDGPU.csdata,"",@progbits
	.type	__hip_cuid_3cf20bb76448912a,@object ; @__hip_cuid_3cf20bb76448912a
	.section	.bss,"aw",@nobits
	.globl	__hip_cuid_3cf20bb76448912a
__hip_cuid_3cf20bb76448912a:
	.byte	0                               ; 0x0
	.size	__hip_cuid_3cf20bb76448912a, 1

	.ident	"AMD clang version 22.0.0git (https://github.com/RadeonOpenCompute/llvm-project roc-7.2.4 26084 f58b06dce1f9c15707c5f808fd002e18c2accf7e)"
	.section	".note.GNU-stack","",@progbits
	.addrsig
	.addrsig_sym __hip_cuid_3cf20bb76448912a
	.amdgpu_metadata
---
amdhsa.kernels:
  - .args:
      - .offset:         0
        .size:           56
        .value_kind:     by_value
      - .offset:         56
        .size:           1
        .value_kind:     by_value
      - .offset:         64
        .size:           4
        .value_kind:     hidden_block_count_x
      - .offset:         68
        .size:           4
        .value_kind:     hidden_block_count_y
      - .offset:         72
        .size:           4
        .value_kind:     hidden_block_count_z
      - .offset:         76
        .size:           2
        .value_kind:     hidden_group_size_x
      - .offset:         78
        .size:           2
        .value_kind:     hidden_group_size_y
      - .offset:         80
        .size:           2
        .value_kind:     hidden_group_size_z
      - .offset:         82
        .size:           2
        .value_kind:     hidden_remainder_x
      - .offset:         84
        .size:           2
        .value_kind:     hidden_remainder_y
      - .offset:         86
        .size:           2
        .value_kind:     hidden_remainder_z
      - .offset:         104
        .size:           8
        .value_kind:     hidden_global_offset_x
      - .offset:         112
        .size:           8
        .value_kind:     hidden_global_offset_y
      - .offset:         120
        .size:           8
        .value_kind:     hidden_global_offset_z
      - .offset:         128
        .size:           2
        .value_kind:     hidden_grid_dims
    .group_segment_fixed_size: 0
    .kernarg_segment_align: 8
    .kernarg_segment_size: 320
    .language:       OpenCL C
    .language_version:
      - 2
      - 0
    .max_flat_workgroup_size: 1024
    .name:           _ZN4RAJA28launch_new_reduce_global_fcnIZ4mainEUlNS_14LaunchContextTINS_3hip33LaunchContextIndicesAndDimsPolicyINS2_14IndicesAndDimsILb0ELb0ELb0ELb0EEEEEEEE0_NS_4expt15ForallParamPackIJEEEEEvT_T0_
    .private_segment_fixed_size: 0
    .sgpr_count:     10
    .sgpr_spill_count: 0
    .symbol:         _ZN4RAJA28launch_new_reduce_global_fcnIZ4mainEUlNS_14LaunchContextTINS_3hip33LaunchContextIndicesAndDimsPolicyINS2_14IndicesAndDimsILb0ELb0ELb0ELb0EEEEEEEE0_NS_4expt15ForallParamPackIJEEEEEvT_T0_.kd
    .uniform_work_group_size: 1
    .uses_dynamic_stack: false
    .vgpr_count:     6
    .vgpr_spill_count: 0
    .wavefront_size: 32
  - .args:
      - .offset:         0
        .size:           56
        .value_kind:     by_value
      - .offset:         56
        .size:           1
        .value_kind:     by_value
    .group_segment_fixed_size: 0
    .kernarg_segment_align: 8
    .kernarg_segment_size: 60
    .language:       OpenCL C
    .language_version:
      - 2
      - 0
    .max_flat_workgroup_size: 1024
    .name:           _ZN4RAJA28launch_new_reduce_global_fcnIZ4mainEUlNS_14LaunchContextTINS_3hip33LaunchContextIndicesAndDimsPolicyINS2_14IndicesAndDimsILb0ELb0ELb0ELb0EEEEEEEE1_NS_4expt15ForallParamPackIJEEEEEvT_T0_
    .private_segment_fixed_size: 0
    .sgpr_count:     11
    .sgpr_spill_count: 0
    .symbol:         _ZN4RAJA28launch_new_reduce_global_fcnIZ4mainEUlNS_14LaunchContextTINS_3hip33LaunchContextIndicesAndDimsPolicyINS2_14IndicesAndDimsILb0ELb0ELb0ELb0EEEEEEEE1_NS_4expt15ForallParamPackIJEEEEEvT_T0_.kd
    .uniform_work_group_size: 1
    .uses_dynamic_stack: false
    .vgpr_count:     6
    .vgpr_spill_count: 0
    .wavefront_size: 32
amdhsa.target:   amdgcn-amd-amdhsa--gfx1250
amdhsa.version:
  - 1
  - 2
...

	.end_amdgpu_metadata
